;; amdgpu-corpus repo=ROCm/aiter kind=harvested arch=n/a opt=n/a

/root/src/amdgpu-assembly/repos/ROCm__aiter/hsa/gfx942/topksoftmax/topksoftmax_4x128x6.co:	file format elf64-amdgpu

Disassembly of section .text:

0000000000001c00 <_ZN5aiter19topksoftmax_4x128x6E>:
	s_and_b32 s1, s1, 0xffff                                   // 000000001C00: 8601FF01 0000FFFF
	s_load_dwordx2 s[4:5], s[0:1], 0x0                         // 000000001C08: C0060100 00000000
	s_load_dwordx2 s[8:9], s[0:1], 0x10                        // 000000001C10: C0060200 00000010
	s_load_dwordx2 s[12:13], s[0:1], 0x20                      // 000000001C18: C0060300 00000020
	s_load_dword s16, s[0:1], 0x30                             // 000000001C20: C0020400 00000030
	s_load_dword s17, s[0:1], 0x40                             // 000000001C28: C0020440 00000040
	s_load_dword s18, s[0:1], 0x50                             // 000000001C30: C0020480 00000050
	s_load_dword s46, s[0:1], 0x60                             // 000000001C38: C0020B80 00000060
	s_load_dword s47, s[0:1], 0x70                             // 000000001C40: C0020BC0 00000070
	v_lshrrev_b32_e32 v1, 10, v0                               // 000000001C48: 2002008A
	v_lshrrev_b32_e32 v2, 10, v1                               // 000000001C4C: 2004028A
	v_and_b32_e32 v2, 0x3ff, v2                                // 000000001C50: 260404FF 000003FF
	v_and_b32_e32 v1, 0x3ff, v1                                // 000000001C58: 260202FF 000003FF
	v_and_b32_e32 v0, 0x3ff, v0                                // 000000001C60: 260000FF 000003FF
	v_lshrrev_b32_e32 v3, 6, v0                                // 000000001C68: 20060086
	v_and_b32_e32 v0, 63, v0                                   // 000000001C6C: 260000BF
	s_mov_b32 s19, s2                                          // 000000001C70: BE930002
	v_readfirstlane_b32 s44, v3                                // 000000001C74: 7E580503
	s_waitcnt lgkmcnt(0)                                       // 000000001C78: BF8CC07F
	s_mov_b32 s6, -16                                          // 000000001C7C: BE8600D0
	s_mov_b32 s10, -16                                         // 000000001C80: BE8A00D0
	s_mov_b32 s14, -16                                         // 000000001C84: BE8E00D0
	s_mov_b32 s7, 0x20000                                      // 000000001C88: BE8700FF 00020000
	s_mov_b32 s11, 0x20000                                     // 000000001C90: BE8B00FF 00020000
	s_mov_b32 s15, 0x20000                                     // 000000001C98: BE8F00FF 00020000
	s_and_b32 s5, s5, 0xffff                                   // 000000001CA0: 8605FF05 0000FFFF
	s_and_b32 s9, s9, 0xffff                                   // 000000001CA8: 8609FF09 0000FFFF
	s_and_b32 s13, s13, 0xffff                                 // 000000001CB0: 860DFF0D 0000FFFF
	s_or_b32 s5, s5, 0x40000                                   // 000000001CB8: 8705FF05 00040000
	s_or_b32 s9, s9, 0x40000                                   // 000000001CC0: 8709FF09 00040000
	s_or_b32 s13, s13, 0x40000                                 // 000000001CC8: 870DFF0D 00040000
	s_mul_i32 s20, s16, s17                                    // 000000001CD0: 92141110
	s_mul_i32 s20, s20, 4                                      // 000000001CD4: 92148414
	s_mov_b32 s14, s20                                         // 000000001CD8: BE8E0014
	v_lshlrev_b32_e32 v8, 2, v0                                // 000000001CDC: 24100082
	s_mul_i32 s20, s17, 4                                      // 000000001CE0: 92148411
	s_mul_i32 s21, s19, 4                                      // 000000001CE4: 92158413
	s_add_i32 s21, s21, s44                                    // 000000001CE8: 81152C15
	s_mul_i32 s20, s20, s21                                    // 000000001CEC: 92141514
	v_add_u32_e32 v8, s20, v8                                  // 000000001CF0: 68101014
	buffer_load_dword v11, v8, s[12:15], 0 offen               // 000000001CF4: E0501000 80030B08
	buffer_load_dword v12, v8, s[12:15], 0 offen offset:256    // 000000001CFC: E0501100 80030C08
	v_mov_b32_e32 v15, 0                                       // 000000001D04: 7E1E0280
	v_mov_b32_e32 v16, 0                                       // 000000001D08: 7E200280
	v_mov_b32_e32 v17, 0                                       // 000000001D0C: 7E220280
	v_mov_b32_e32 v18, 0                                       // 000000001D10: 7E240280
	v_mov_b32_e32 v13, 0                                       // 000000001D14: 7E1A0280
	v_mov_b32_e32 v14, 0                                       // 000000001D18: 7E1C0280
	v_mov_b32_e32 v19, 0                                       // 000000001D1C: 7E260280
	s_mov_b32 s18, 6                                           // 000000001D20: BE920086
	v_lshlrev_b32_e32 v9, 2, v0                                // 000000001D24: 24120082
	s_mov_b32 s20, s47                                         // 000000001D28: BE94002F
	s_mul_i32 s21, s19, 4                                      // 000000001D2C: 92158413
	s_add_i32 s21, s21, s44                                    // 000000001D30: 81152C15
	s_mul_i32 s20, s20, s21                                    // 000000001D34: 92141514
	v_add_u32_e32 v9, s20, v9                                  // 000000001D38: 68121214
	v_mov_b32_e32 v10, v9                                      // 000000001D3C: 7E140309
	s_mul_i32 s20, s16, s47                                    // 000000001D40: 92142F10
	s_mov_b32 s6, s20                                          // 000000001D44: BE860014
	s_mov_b32 s10, s20                                         // 000000001D48: BE8A0014
	s_mov_b32 s45, 0x3fb8aa3b                                  // 000000001D4C: BEAD00FF 3FB8AA3B
	s_mov_b32 s32, 0                                           // 000000001D54: BEA00080
	s_mov_b32 s38, 1                                           // 000000001D58: BEA60081
	s_mov_b32 s33, 0                                           // 000000001D5C: BEA10080
	s_mov_b32 s39, 1                                           // 000000001D60: BEA70081
	s_mov_b32 s34, 0                                           // 000000001D64: BEA20080
	s_mov_b32 s40, 1                                           // 000000001D68: BEA80081
	s_mov_b32 s35, 0                                           // 000000001D6C: BEA30080
	s_mov_b32 s41, 1                                           // 000000001D70: BEA90081
	s_mov_b32 s36, 0                                           // 000000001D74: BEA40080
	s_mov_b32 s42, 1                                           // 000000001D78: BEAA0081
	s_mov_b32 s37, 0                                           // 000000001D7C: BEA50080
	s_mov_b32 s43, 1                                           // 000000001D80: BEAB0081
	s_waitcnt vmcnt(0) expcnt(0) lgkmcnt(0)                    // 000000001D84: BF8C0000
	v_mul_f32_e64 v11, v11, s45                                // 000000001D88: D105000B 00005B0B
	v_exp_f32_e32 v11, v11                                     // 000000001D90: 7E16410B
	v_mul_f32_e64 v12, v12, s45                                // 000000001D94: D105000C 00005B0C
	v_exp_f32_e32 v12, v12                                     // 000000001D9C: 7E18410C
	s_nop 0                                                    // 000000001DA0: BF800000
	v_add_f32_e32 v15, v15, v11                                // 000000001DA4: 021E170F
	v_add_f32_e32 v15, v15, v12                                // 000000001DA8: 021E190F
	s_nop 1                                                    // 000000001DAC: BF800001
	v_add_f32_dpp v4, v15, v15 quad_perm:[1,0,3,2] row_mask:0xf bank_mask:0xf// 000000001DB0: 02081EFA FF00B10F
	s_nop 1                                                    // 000000001DB8: BF800001
	v_add_f32_dpp v4, v4, v4 quad_perm:[2,3,0,1] row_mask:0xf bank_mask:0xf// 000000001DBC: 020808FA FF004E04
	s_nop 1                                                    // 000000001DC4: BF800001
	v_add_f32_dpp v4, v4, v4 row_shr:4 row_mask:0xf bank_mask:0xf// 000000001DC8: 020808FA FF011404
	s_nop 1                                                    // 000000001DD0: BF800001
	v_add_f32_dpp v4, v4, v4 row_shr:8 row_mask:0xf bank_mask:0xf// 000000001DD4: 020808FA FF011804
	s_nop 1                                                    // 000000001DDC: BF800001
	v_add_f32_dpp v4, v4, v4 row_bcast:15 row_mask:0xf bank_mask:0xf// 000000001DE0: 020808FA FF014204
	s_nop 1                                                    // 000000001DE8: BF800001
	v_add_f32_dpp v4, v4, v4 row_bcast:31 row_mask:0xf bank_mask:0xf// 000000001DEC: 020808FA FF014304
	s_nop 0                                                    // 000000001DF4: BF800000
	v_readlane_b32 s20, v4, 63                                 // 000000001DF8: D2890014 00017F04
	v_mov_b32_e32 v16, s20                                     // 000000001E00: 7E200214
	v_rcp_f32_e32 v15, v16                                     // 000000001E04: 7E1E4510
	s_nop 0                                                    // 000000001E08: BF800000
	v_mul_f32_e32 v11, v11, v15                                // 000000001E0C: 0A161F0B
	v_mul_f32_e32 v12, v12, v15                                // 000000001E10: 0A181F0C
	s_cmp_eq_u32 s46, 0                                        // 000000001E14: BF06802E
	s_cbranch_scc0 label_01BF                                  // 000000001E18: BF840138
	v_max_f32_e32 v17, v11, v12                                // 000000001E1C: 1622190B
	s_nop 1                                                    // 000000001E20: BF800001
	v_max_f32_dpp v4, v17, v17 quad_perm:[1,0,3,2] row_mask:0xf bank_mask:0xf// 000000001E24: 160822FA FF00B111
	s_nop 1                                                    // 000000001E2C: BF800001
	v_max_f32_dpp v4, v4, v4 quad_perm:[2,3,0,1] row_mask:0xf bank_mask:0xf// 000000001E30: 160808FA FF004E04
	s_nop 1                                                    // 000000001E38: BF800001
	v_max_f32_dpp v4, v4, v4 row_shr:4 row_mask:0xf bank_mask:0xf// 000000001E3C: 160808FA FF011404
	s_nop 1                                                    // 000000001E44: BF800001
	v_max_f32_dpp v4, v4, v4 row_shr:8 row_mask:0xf bank_mask:0xf// 000000001E48: 160808FA FF011804
	s_nop 1                                                    // 000000001E50: BF800001
	v_max_f32_dpp v4, v4, v4 row_bcast:15 row_mask:0xf bank_mask:0xf// 000000001E54: 160808FA FF014204
	s_nop 1                                                    // 000000001E5C: BF800001
	v_max_f32_dpp v4, v4, v4 row_bcast:31 row_mask:0xf bank_mask:0xf// 000000001E60: 160808FA FF014304
	s_nop 0                                                    // 000000001E68: BF800000
	v_readlane_b32 s20, v4, 63                                 // 000000001E6C: D2890014 00017F04
	v_mov_b32_e32 v17, s20                                     // 000000001E74: 7E220214
	v_cmp_eq_f32_e64 s[24:25], v17, v11                        // 000000001E78: D0420018 00021711
	v_cmp_eq_f32_e64 s[26:27], v17, v12                        // 000000001E80: D042001A 00021911
	s_ff1_i32_b64 s28, s[24:25]                                // 000000001E88: BE9C1118
	s_ff1_i32_b64 s29, s[26:27]                                // 000000001E8C: BE9D111A
	v_readlane_b32 s20, v17, 0                                 // 000000001E90: D2890014 00010111
	v_writelane_b32 v14, s20, 0                                // 000000001E98: D28A000E 00010014
	s_mov_b32 s22, s28                                         // 000000001EA0: BE96001C
	s_cmp_eq_u32 s28, -1                                       // 000000001EA4: BF06C11C
	s_cselect_b32 s21, 1, 0                                    // 000000001EA8: 85158081
	s_cbranch_scc0 label_00B2                                  // 000000001EAC: BF840006
	s_add_u32 s32, s21, s32                                    // 000000001EB0: 80202015
	s_mov_b32 s22, s29                                         // 000000001EB4: BE96001D
	s_cmp_eq_u32 s29, -1                                       // 000000001EB8: BF06C11D
	s_cselect_b32 s21, 1, 0                                    // 000000001EBC: 85158081
	s_cbranch_scc0 label_00B2                                  // 000000001EC0: BF840001
	s_add_u32 s32, s21, s32                                    // 000000001EC4: 80202015

0000000000001ec8 <label_00B2>:
	s_set_gpr_idx_on s32, gpr_idx(DST)                         // 000000001EC8: BF110820
	v_writelane_b32 v11, 0, s22                                // 000000001ECC: D28A000B 00002C80
	s_set_gpr_idx_off                                          // 000000001ED4: BF9C0000
	s_mul_i32 s32, 64, s32                                     // 000000001ED8: 922020C0
	s_add_u32 s32, s22, s32                                    // 000000001EDC: 80202016
	v_writelane_b32 v13, s32, 0                                // 000000001EE0: D28A000D 00010020
	v_max_f32_e32 v17, v11, v12                                // 000000001EE8: 1622190B
	s_nop 1                                                    // 000000001EEC: BF800001
	v_max_f32_dpp v4, v17, v17 quad_perm:[1,0,3,2] row_mask:0xf bank_mask:0xf// 000000001EF0: 160822FA FF00B111
	s_nop 1                                                    // 000000001EF8: BF800001
	v_max_f32_dpp v4, v4, v4 quad_perm:[2,3,0,1] row_mask:0xf bank_mask:0xf// 000000001EFC: 160808FA FF004E04
	s_nop 1                                                    // 000000001F04: BF800001
	v_max_f32_dpp v4, v4, v4 row_shr:4 row_mask:0xf bank_mask:0xf// 000000001F08: 160808FA FF011404
	s_nop 1                                                    // 000000001F10: BF800001
	v_max_f32_dpp v4, v4, v4 row_shr:8 row_mask:0xf bank_mask:0xf// 000000001F14: 160808FA FF011804
	s_nop 1                                                    // 000000001F1C: BF800001
	v_max_f32_dpp v4, v4, v4 row_bcast:15 row_mask:0xf bank_mask:0xf// 000000001F20: 160808FA FF014204
	s_nop 1                                                    // 000000001F28: BF800001
	v_max_f32_dpp v4, v4, v4 row_bcast:31 row_mask:0xf bank_mask:0xf// 000000001F2C: 160808FA FF014304
	s_nop 0                                                    // 000000001F34: BF800000
	v_readlane_b32 s20, v4, 63                                 // 000000001F38: D2890014 00017F04
	v_mov_b32_e32 v17, s20                                     // 000000001F40: 7E220214
	v_cmp_eq_f32_e64 s[24:25], v17, v11                        // 000000001F44: D0420018 00021711
	v_cmp_eq_f32_e64 s[26:27], v17, v12                        // 000000001F4C: D042001A 00021911
	s_ff1_i32_b64 s28, s[24:25]                                // 000000001F54: BE9C1118
	s_ff1_i32_b64 s29, s[26:27]                                // 000000001F58: BE9D111A
	v_readlane_b32 s20, v17, 0                                 // 000000001F5C: D2890014 00010111
	v_writelane_b32 v14, s20, 1                                // 000000001F64: D28A000E 00010214
	s_mov_b32 s22, s28                                         // 000000001F6C: BE96001C
	s_cmp_eq_u32 s28, -1                                       // 000000001F70: BF06C11C
	s_cselect_b32 s21, 1, 0                                    // 000000001F74: 85158081
	s_cbranch_scc0 label_00E5                                  // 000000001F78: BF840006
	s_add_u32 s33, s21, s33                                    // 000000001F7C: 80212115
	s_mov_b32 s22, s29                                         // 000000001F80: BE96001D
	s_cmp_eq_u32 s29, -1                                       // 000000001F84: BF06C11D
	s_cselect_b32 s21, 1, 0                                    // 000000001F88: 85158081
	s_cbranch_scc0 label_00E5                                  // 000000001F8C: BF840001
	s_add_u32 s33, s21, s33                                    // 000000001F90: 80212115

0000000000001f94 <label_00E5>:
	s_set_gpr_idx_on s33, gpr_idx(DST)                         // 000000001F94: BF110821
	v_writelane_b32 v11, 0, s22                                // 000000001F98: D28A000B 00002C80
	s_set_gpr_idx_off                                          // 000000001FA0: BF9C0000
	s_mul_i32 s33, 64, s33                                     // 000000001FA4: 922121C0
	s_add_u32 s33, s22, s33                                    // 000000001FA8: 80212116
	v_writelane_b32 v13, s33, 1                                // 000000001FAC: D28A000D 00010221
	v_max_f32_e32 v17, v11, v12                                // 000000001FB4: 1622190B
	s_nop 1                                                    // 000000001FB8: BF800001
	v_max_f32_dpp v4, v17, v17 quad_perm:[1,0,3,2] row_mask:0xf bank_mask:0xf// 000000001FBC: 160822FA FF00B111
	s_nop 1                                                    // 000000001FC4: BF800001
	v_max_f32_dpp v4, v4, v4 quad_perm:[2,3,0,1] row_mask:0xf bank_mask:0xf// 000000001FC8: 160808FA FF004E04
	s_nop 1                                                    // 000000001FD0: BF800001
	v_max_f32_dpp v4, v4, v4 row_shr:4 row_mask:0xf bank_mask:0xf// 000000001FD4: 160808FA FF011404
	s_nop 1                                                    // 000000001FDC: BF800001
	v_max_f32_dpp v4, v4, v4 row_shr:8 row_mask:0xf bank_mask:0xf// 000000001FE0: 160808FA FF011804
	s_nop 1                                                    // 000000001FE8: BF800001
	v_max_f32_dpp v4, v4, v4 row_bcast:15 row_mask:0xf bank_mask:0xf// 000000001FEC: 160808FA FF014204
	s_nop 1                                                    // 000000001FF4: BF800001
	v_max_f32_dpp v4, v4, v4 row_bcast:31 row_mask:0xf bank_mask:0xf// 000000001FF8: 160808FA FF014304
	s_nop 0                                                    // 000000002000: BF800000
	v_readlane_b32 s20, v4, 63                                 // 000000002004: D2890014 00017F04
	v_mov_b32_e32 v17, s20                                     // 00000000200C: 7E220214
	v_cmp_eq_f32_e64 s[24:25], v17, v11                        // 000000002010: D0420018 00021711
	v_cmp_eq_f32_e64 s[26:27], v17, v12                        // 000000002018: D042001A 00021911
	s_ff1_i32_b64 s28, s[24:25]                                // 000000002020: BE9C1118
	s_ff1_i32_b64 s29, s[26:27]                                // 000000002024: BE9D111A
	v_readlane_b32 s20, v17, 0                                 // 000000002028: D2890014 00010111
	v_writelane_b32 v14, s20, 2                                // 000000002030: D28A000E 00010414
	s_mov_b32 s22, s28                                         // 000000002038: BE96001C
	s_cmp_eq_u32 s28, -1                                       // 00000000203C: BF06C11C
	s_cselect_b32 s21, 1, 0                                    // 000000002040: 85158081
	s_cbranch_scc0 label_0118                                  // 000000002044: BF840006
	s_add_u32 s34, s21, s34                                    // 000000002048: 80222215
	s_mov_b32 s22, s29                                         // 00000000204C: BE96001D
	s_cmp_eq_u32 s29, -1                                       // 000000002050: BF06C11D
	s_cselect_b32 s21, 1, 0                                    // 000000002054: 85158081
	s_cbranch_scc0 label_0118                                  // 000000002058: BF840001
	s_add_u32 s34, s21, s34                                    // 00000000205C: 80222215

0000000000002060 <label_0118>:
	s_set_gpr_idx_on s34, gpr_idx(DST)                         // 000000002060: BF110822
	v_writelane_b32 v11, 0, s22                                // 000000002064: D28A000B 00002C80
	s_set_gpr_idx_off                                          // 00000000206C: BF9C0000
	s_mul_i32 s34, 64, s34                                     // 000000002070: 922222C0
	s_add_u32 s34, s22, s34                                    // 000000002074: 80222216
	v_writelane_b32 v13, s34, 2                                // 000000002078: D28A000D 00010422
	v_max_f32_e32 v17, v11, v12                                // 000000002080: 1622190B
	s_nop 1                                                    // 000000002084: BF800001
	v_max_f32_dpp v4, v17, v17 quad_perm:[1,0,3,2] row_mask:0xf bank_mask:0xf// 000000002088: 160822FA FF00B111
	s_nop 1                                                    // 000000002090: BF800001
	v_max_f32_dpp v4, v4, v4 quad_perm:[2,3,0,1] row_mask:0xf bank_mask:0xf// 000000002094: 160808FA FF004E04
	s_nop 1                                                    // 00000000209C: BF800001
	v_max_f32_dpp v4, v4, v4 row_shr:4 row_mask:0xf bank_mask:0xf// 0000000020A0: 160808FA FF011404
	s_nop 1                                                    // 0000000020A8: BF800001
	v_max_f32_dpp v4, v4, v4 row_shr:8 row_mask:0xf bank_mask:0xf// 0000000020AC: 160808FA FF011804
	s_nop 1                                                    // 0000000020B4: BF800001
	v_max_f32_dpp v4, v4, v4 row_bcast:15 row_mask:0xf bank_mask:0xf// 0000000020B8: 160808FA FF014204
	s_nop 1                                                    // 0000000020C0: BF800001
	v_max_f32_dpp v4, v4, v4 row_bcast:31 row_mask:0xf bank_mask:0xf// 0000000020C4: 160808FA FF014304
	s_nop 0                                                    // 0000000020CC: BF800000
	v_readlane_b32 s20, v4, 63                                 // 0000000020D0: D2890014 00017F04
	v_mov_b32_e32 v17, s20                                     // 0000000020D8: 7E220214
	v_cmp_eq_f32_e64 s[24:25], v17, v11                        // 0000000020DC: D0420018 00021711
	v_cmp_eq_f32_e64 s[26:27], v17, v12                        // 0000000020E4: D042001A 00021911
	s_ff1_i32_b64 s28, s[24:25]                                // 0000000020EC: BE9C1118
	s_ff1_i32_b64 s29, s[26:27]                                // 0000000020F0: BE9D111A
	v_readlane_b32 s20, v17, 0                                 // 0000000020F4: D2890014 00010111
	v_writelane_b32 v14, s20, 3                                // 0000000020FC: D28A000E 00010614
	s_mov_b32 s22, s28                                         // 000000002104: BE96001C
	s_cmp_eq_u32 s28, -1                                       // 000000002108: BF06C11C
	s_cselect_b32 s21, 1, 0                                    // 00000000210C: 85158081
	s_cbranch_scc0 label_014B                                  // 000000002110: BF840006
	s_add_u32 s35, s21, s35                                    // 000000002114: 80232315
	s_mov_b32 s22, s29                                         // 000000002118: BE96001D
	s_cmp_eq_u32 s29, -1                                       // 00000000211C: BF06C11D
	s_cselect_b32 s21, 1, 0                                    // 000000002120: 85158081
	s_cbranch_scc0 label_014B                                  // 000000002124: BF840001
	s_add_u32 s35, s21, s35                                    // 000000002128: 80232315

000000000000212c <label_014B>:
	s_set_gpr_idx_on s35, gpr_idx(DST)                         // 00000000212C: BF110823
	v_writelane_b32 v11, 0, s22                                // 000000002130: D28A000B 00002C80
	s_set_gpr_idx_off                                          // 000000002138: BF9C0000
	s_mul_i32 s35, 64, s35                                     // 00000000213C: 922323C0
	s_add_u32 s35, s22, s35                                    // 000000002140: 80232316
	v_writelane_b32 v13, s35, 3                                // 000000002144: D28A000D 00010623
	v_max_f32_e32 v17, v11, v12                                // 00000000214C: 1622190B
	s_nop 1                                                    // 000000002150: BF800001
	v_max_f32_dpp v4, v17, v17 quad_perm:[1,0,3,2] row_mask:0xf bank_mask:0xf// 000000002154: 160822FA FF00B111
	s_nop 1                                                    // 00000000215C: BF800001
	v_max_f32_dpp v4, v4, v4 quad_perm:[2,3,0,1] row_mask:0xf bank_mask:0xf// 000000002160: 160808FA FF004E04
	s_nop 1                                                    // 000000002168: BF800001
	v_max_f32_dpp v4, v4, v4 row_shr:4 row_mask:0xf bank_mask:0xf// 00000000216C: 160808FA FF011404
	s_nop 1                                                    // 000000002174: BF800001
	v_max_f32_dpp v4, v4, v4 row_shr:8 row_mask:0xf bank_mask:0xf// 000000002178: 160808FA FF011804
	s_nop 1                                                    // 000000002180: BF800001
	v_max_f32_dpp v4, v4, v4 row_bcast:15 row_mask:0xf bank_mask:0xf// 000000002184: 160808FA FF014204
	s_nop 1                                                    // 00000000218C: BF800001
	v_max_f32_dpp v4, v4, v4 row_bcast:31 row_mask:0xf bank_mask:0xf// 000000002190: 160808FA FF014304
	s_nop 0                                                    // 000000002198: BF800000
	v_readlane_b32 s20, v4, 63                                 // 00000000219C: D2890014 00017F04
	v_mov_b32_e32 v17, s20                                     // 0000000021A4: 7E220214
	v_cmp_eq_f32_e64 s[24:25], v17, v11                        // 0000000021A8: D0420018 00021711
	v_cmp_eq_f32_e64 s[26:27], v17, v12                        // 0000000021B0: D042001A 00021911
	s_ff1_i32_b64 s28, s[24:25]                                // 0000000021B8: BE9C1118
	s_ff1_i32_b64 s29, s[26:27]                                // 0000000021BC: BE9D111A
	v_readlane_b32 s20, v17, 0                                 // 0000000021C0: D2890014 00010111
	v_writelane_b32 v14, s20, 4                                // 0000000021C8: D28A000E 00010814
	s_mov_b32 s22, s28                                         // 0000000021D0: BE96001C
	s_cmp_eq_u32 s28, -1                                       // 0000000021D4: BF06C11C
	s_cselect_b32 s21, 1, 0                                    // 0000000021D8: 85158081
	s_cbranch_scc0 label_017E                                  // 0000000021DC: BF840006
	s_add_u32 s36, s21, s36                                    // 0000000021E0: 80242415
	s_mov_b32 s22, s29                                         // 0000000021E4: BE96001D
	s_cmp_eq_u32 s29, -1                                       // 0000000021E8: BF06C11D
	s_cselect_b32 s21, 1, 0                                    // 0000000021EC: 85158081
	s_cbranch_scc0 label_017E                                  // 0000000021F0: BF840001
	s_add_u32 s36, s21, s36                                    // 0000000021F4: 80242415

00000000000021f8 <label_017E>:
	s_set_gpr_idx_on s36, gpr_idx(DST)                         // 0000000021F8: BF110824
	v_writelane_b32 v11, 0, s22                                // 0000000021FC: D28A000B 00002C80
	s_set_gpr_idx_off                                          // 000000002204: BF9C0000
	s_mul_i32 s36, 64, s36                                     // 000000002208: 922424C0
	s_add_u32 s36, s22, s36                                    // 00000000220C: 80242416
	v_writelane_b32 v13, s36, 4                                // 000000002210: D28A000D 00010824
	v_max_f32_e32 v17, v11, v12                                // 000000002218: 1622190B
	s_nop 1                                                    // 00000000221C: BF800001
	v_max_f32_dpp v4, v17, v17 quad_perm:[1,0,3,2] row_mask:0xf bank_mask:0xf// 000000002220: 160822FA FF00B111
	s_nop 1                                                    // 000000002228: BF800001
	v_max_f32_dpp v4, v4, v4 quad_perm:[2,3,0,1] row_mask:0xf bank_mask:0xf// 00000000222C: 160808FA FF004E04
	s_nop 1                                                    // 000000002234: BF800001
	v_max_f32_dpp v4, v4, v4 row_shr:4 row_mask:0xf bank_mask:0xf// 000000002238: 160808FA FF011404
	s_nop 1                                                    // 000000002240: BF800001
	v_max_f32_dpp v4, v4, v4 row_shr:8 row_mask:0xf bank_mask:0xf// 000000002244: 160808FA FF011804
	s_nop 1                                                    // 00000000224C: BF800001
	v_max_f32_dpp v4, v4, v4 row_bcast:15 row_mask:0xf bank_mask:0xf// 000000002250: 160808FA FF014204
	s_nop 1                                                    // 000000002258: BF800001
	v_max_f32_dpp v4, v4, v4 row_bcast:31 row_mask:0xf bank_mask:0xf// 00000000225C: 160808FA FF014304
	s_nop 0                                                    // 000000002264: BF800000
	v_readlane_b32 s20, v4, 63                                 // 000000002268: D2890014 00017F04
	v_mov_b32_e32 v17, s20                                     // 000000002270: 7E220214
	v_cmp_eq_f32_e64 s[24:25], v17, v11                        // 000000002274: D0420018 00021711
	v_cmp_eq_f32_e64 s[26:27], v17, v12                        // 00000000227C: D042001A 00021911
	s_ff1_i32_b64 s28, s[24:25]                                // 000000002284: BE9C1118
	s_ff1_i32_b64 s29, s[26:27]                                // 000000002288: BE9D111A
	v_readlane_b32 s20, v17, 0                                 // 00000000228C: D2890014 00010111
	v_writelane_b32 v14, s20, 5                                // 000000002294: D28A000E 00010A14
	s_mov_b32 s22, s28                                         // 00000000229C: BE96001C
	s_cmp_eq_u32 s28, -1                                       // 0000000022A0: BF06C11C
	s_cselect_b32 s21, 1, 0                                    // 0000000022A4: 85158081
	s_cbranch_scc0 label_01B1                                  // 0000000022A8: BF840006
	s_add_u32 s37, s21, s37                                    // 0000000022AC: 80252515
	s_mov_b32 s22, s29                                         // 0000000022B0: BE96001D
	s_cmp_eq_u32 s29, -1                                       // 0000000022B4: BF06C11D
	s_cselect_b32 s21, 1, 0                                    // 0000000022B8: 85158081
	s_cbranch_scc0 label_01B1                                  // 0000000022BC: BF840001
	s_add_u32 s37, s21, s37                                    // 0000000022C0: 80252515

00000000000022c4 <label_01B1>:
	s_set_gpr_idx_on s37, gpr_idx(DST)                         // 0000000022C4: BF110825
	v_writelane_b32 v11, 0, s22                                // 0000000022C8: D28A000B 00002C80
	s_set_gpr_idx_off                                          // 0000000022D0: BF9C0000
	s_mul_i32 s37, 64, s37                                     // 0000000022D4: 922525C0
	s_add_u32 s37, s22, s37                                    // 0000000022D8: 80252516
	v_writelane_b32 v13, s37, 5                                // 0000000022DC: D28A000D 00010A25
	s_bfm_b64 exec, s18, 0                                     // 0000000022E4: 91FE8012
	buffer_store_dword v13, v9, s[4:7], 0 offen                // 0000000022E8: E0701000 80010D09
	buffer_store_dword v14, v10, s[8:11], 0 offen              // 0000000022F0: E0701000 80020E0A
	s_branch label_02FF                                        // 0000000022F8: BF820140

00000000000022fc <label_01BF>:
	v_max_f32_e32 v17, v11, v12                                // 0000000022FC: 1622190B
	s_nop 1                                                    // 000000002300: BF800001
	v_max_f32_dpp v4, v17, v17 quad_perm:[1,0,3,2] row_mask:0xf bank_mask:0xf// 000000002304: 160822FA FF00B111
	s_nop 1                                                    // 00000000230C: BF800001
	v_max_f32_dpp v4, v4, v4 quad_perm:[2,3,0,1] row_mask:0xf bank_mask:0xf// 000000002310: 160808FA FF004E04
	s_nop 1                                                    // 000000002318: BF800001
	v_max_f32_dpp v4, v4, v4 row_shr:4 row_mask:0xf bank_mask:0xf// 00000000231C: 160808FA FF011404
	s_nop 1                                                    // 000000002324: BF800001
	v_max_f32_dpp v4, v4, v4 row_shr:8 row_mask:0xf bank_mask:0xf// 000000002328: 160808FA FF011804
	s_nop 1                                                    // 000000002330: BF800001
	v_max_f32_dpp v4, v4, v4 row_bcast:15 row_mask:0xf bank_mask:0xf// 000000002334: 160808FA FF014204
	s_nop 1                                                    // 00000000233C: BF800001
	v_max_f32_dpp v4, v4, v4 row_bcast:31 row_mask:0xf bank_mask:0xf// 000000002340: 160808FA FF014304
	s_nop 0                                                    // 000000002348: BF800000
	v_readlane_b32 s20, v4, 63                                 // 00000000234C: D2890014 00017F04
	v_mov_b32_e32 v17, s20                                     // 000000002354: 7E220214
	v_add_f32_e32 v19, v19, v17                                // 000000002358: 02262313
	v_cmp_eq_f32_e64 s[24:25], v17, v11                        // 00000000235C: D0420018 00021711
	v_cmp_eq_f32_e64 s[26:27], v17, v12                        // 000000002364: D042001A 00021911
	s_ff1_i32_b64 s28, s[24:25]                                // 00000000236C: BE9C1118
	s_ff1_i32_b64 s29, s[26:27]                                // 000000002370: BE9D111A
	v_readlane_b32 s20, v17, 0                                 // 000000002374: D2890014 00010111
	v_writelane_b32 v14, s20, 0                                // 00000000237C: D28A000E 00010014
	s_mov_b32 s22, s28                                         // 000000002384: BE96001C
	s_cmp_eq_u32 s28, -1                                       // 000000002388: BF06C11C
	s_cselect_b32 s21, 1, 0                                    // 00000000238C: 85158081
	s_cbranch_scc0 label_01EB                                  // 000000002390: BF840006
	s_add_u32 s32, s21, s32                                    // 000000002394: 80202015
	s_mov_b32 s22, s29                                         // 000000002398: BE96001D
	s_cmp_eq_u32 s29, -1                                       // 00000000239C: BF06C11D
	s_cselect_b32 s21, 1, 0                                    // 0000000023A0: 85158081
	s_cbranch_scc0 label_01EB                                  // 0000000023A4: BF840001
	s_add_u32 s32, s21, s32                                    // 0000000023A8: 80202015

00000000000023ac <label_01EB>:
	s_set_gpr_idx_on s32, gpr_idx(DST)                         // 0000000023AC: BF110820
	v_writelane_b32 v11, 0, s22                                // 0000000023B0: D28A000B 00002C80
	s_set_gpr_idx_off                                          // 0000000023B8: BF9C0000
	s_mul_i32 s32, 64, s32                                     // 0000000023BC: 922020C0
	s_add_u32 s32, s22, s32                                    // 0000000023C0: 80202016
	v_writelane_b32 v13, s32, 0                                // 0000000023C4: D28A000D 00010020
	v_max_f32_e32 v17, v11, v12                                // 0000000023CC: 1622190B
	s_nop 1                                                    // 0000000023D0: BF800001
	v_max_f32_dpp v4, v17, v17 quad_perm:[1,0,3,2] row_mask:0xf bank_mask:0xf// 0000000023D4: 160822FA FF00B111
	s_nop 1                                                    // 0000000023DC: BF800001
	v_max_f32_dpp v4, v4, v4 quad_perm:[2,3,0,1] row_mask:0xf bank_mask:0xf// 0000000023E0: 160808FA FF004E04
	s_nop 1                                                    // 0000000023E8: BF800001
	v_max_f32_dpp v4, v4, v4 row_shr:4 row_mask:0xf bank_mask:0xf// 0000000023EC: 160808FA FF011404
	s_nop 1                                                    // 0000000023F4: BF800001
	v_max_f32_dpp v4, v4, v4 row_shr:8 row_mask:0xf bank_mask:0xf// 0000000023F8: 160808FA FF011804
	s_nop 1                                                    // 000000002400: BF800001
	v_max_f32_dpp v4, v4, v4 row_bcast:15 row_mask:0xf bank_mask:0xf// 000000002404: 160808FA FF014204
	s_nop 1                                                    // 00000000240C: BF800001
	v_max_f32_dpp v4, v4, v4 row_bcast:31 row_mask:0xf bank_mask:0xf// 000000002410: 160808FA FF014304
	s_nop 0                                                    // 000000002418: BF800000
	v_readlane_b32 s20, v4, 63                                 // 00000000241C: D2890014 00017F04
	v_mov_b32_e32 v17, s20                                     // 000000002424: 7E220214
	v_add_f32_e32 v19, v19, v17                                // 000000002428: 02262313
	v_cmp_eq_f32_e64 s[24:25], v17, v11                        // 00000000242C: D0420018 00021711
	v_cmp_eq_f32_e64 s[26:27], v17, v12                        // 000000002434: D042001A 00021911
	s_ff1_i32_b64 s28, s[24:25]                                // 00000000243C: BE9C1118
	s_ff1_i32_b64 s29, s[26:27]                                // 000000002440: BE9D111A
	v_readlane_b32 s20, v17, 0                                 // 000000002444: D2890014 00010111
	v_writelane_b32 v14, s20, 1                                // 00000000244C: D28A000E 00010214
	s_mov_b32 s22, s28                                         // 000000002454: BE96001C
	s_cmp_eq_u32 s28, -1                                       // 000000002458: BF06C11C
	s_cselect_b32 s21, 1, 0                                    // 00000000245C: 85158081
	s_cbranch_scc0 label_021F                                  // 000000002460: BF840006
	s_add_u32 s33, s21, s33                                    // 000000002464: 80212115
	s_mov_b32 s22, s29                                         // 000000002468: BE96001D
	s_cmp_eq_u32 s29, -1                                       // 00000000246C: BF06C11D
	s_cselect_b32 s21, 1, 0                                    // 000000002470: 85158081
	s_cbranch_scc0 label_021F                                  // 000000002474: BF840001
	s_add_u32 s33, s21, s33                                    // 000000002478: 80212115

000000000000247c <label_021F>:
	s_set_gpr_idx_on s33, gpr_idx(DST)                         // 00000000247C: BF110821
	v_writelane_b32 v11, 0, s22                                // 000000002480: D28A000B 00002C80
	s_set_gpr_idx_off                                          // 000000002488: BF9C0000
	s_mul_i32 s33, 64, s33                                     // 00000000248C: 922121C0
	s_add_u32 s33, s22, s33                                    // 000000002490: 80212116
	v_writelane_b32 v13, s33, 1                                // 000000002494: D28A000D 00010221
	v_max_f32_e32 v17, v11, v12                                // 00000000249C: 1622190B
	s_nop 1                                                    // 0000000024A0: BF800001
	v_max_f32_dpp v4, v17, v17 quad_perm:[1,0,3,2] row_mask:0xf bank_mask:0xf// 0000000024A4: 160822FA FF00B111
	s_nop 1                                                    // 0000000024AC: BF800001
	v_max_f32_dpp v4, v4, v4 quad_perm:[2,3,0,1] row_mask:0xf bank_mask:0xf// 0000000024B0: 160808FA FF004E04
	s_nop 1                                                    // 0000000024B8: BF800001
	v_max_f32_dpp v4, v4, v4 row_shr:4 row_mask:0xf bank_mask:0xf// 0000000024BC: 160808FA FF011404
	s_nop 1                                                    // 0000000024C4: BF800001
	v_max_f32_dpp v4, v4, v4 row_shr:8 row_mask:0xf bank_mask:0xf// 0000000024C8: 160808FA FF011804
	s_nop 1                                                    // 0000000024D0: BF800001
	v_max_f32_dpp v4, v4, v4 row_bcast:15 row_mask:0xf bank_mask:0xf// 0000000024D4: 160808FA FF014204
	s_nop 1                                                    // 0000000024DC: BF800001
	v_max_f32_dpp v4, v4, v4 row_bcast:31 row_mask:0xf bank_mask:0xf// 0000000024E0: 160808FA FF014304
	s_nop 0                                                    // 0000000024E8: BF800000
	v_readlane_b32 s20, v4, 63                                 // 0000000024EC: D2890014 00017F04
	v_mov_b32_e32 v17, s20                                     // 0000000024F4: 7E220214
	v_add_f32_e32 v19, v19, v17                                // 0000000024F8: 02262313
	v_cmp_eq_f32_e64 s[24:25], v17, v11                        // 0000000024FC: D0420018 00021711
	v_cmp_eq_f32_e64 s[26:27], v17, v12                        // 000000002504: D042001A 00021911
	s_ff1_i32_b64 s28, s[24:25]                                // 00000000250C: BE9C1118
	s_ff1_i32_b64 s29, s[26:27]                                // 000000002510: BE9D111A
	v_readlane_b32 s20, v17, 0                                 // 000000002514: D2890014 00010111
	v_writelane_b32 v14, s20, 2                                // 00000000251C: D28A000E 00010414
	s_mov_b32 s22, s28                                         // 000000002524: BE96001C
	s_cmp_eq_u32 s28, -1                                       // 000000002528: BF06C11C
	s_cselect_b32 s21, 1, 0                                    // 00000000252C: 85158081
	s_cbranch_scc0 label_0253                                  // 000000002530: BF840006
	s_add_u32 s34, s21, s34                                    // 000000002534: 80222215
	s_mov_b32 s22, s29                                         // 000000002538: BE96001D
	s_cmp_eq_u32 s29, -1                                       // 00000000253C: BF06C11D
	s_cselect_b32 s21, 1, 0                                    // 000000002540: 85158081
	s_cbranch_scc0 label_0253                                  // 000000002544: BF840001
	s_add_u32 s34, s21, s34                                    // 000000002548: 80222215

000000000000254c <label_0253>:
	s_set_gpr_idx_on s34, gpr_idx(DST)                         // 00000000254C: BF110822
	v_writelane_b32 v11, 0, s22                                // 000000002550: D28A000B 00002C80
	s_set_gpr_idx_off                                          // 000000002558: BF9C0000
	s_mul_i32 s34, 64, s34                                     // 00000000255C: 922222C0
	s_add_u32 s34, s22, s34                                    // 000000002560: 80222216
	v_writelane_b32 v13, s34, 2                                // 000000002564: D28A000D 00010422
	v_max_f32_e32 v17, v11, v12                                // 00000000256C: 1622190B
	s_nop 1                                                    // 000000002570: BF800001
	v_max_f32_dpp v4, v17, v17 quad_perm:[1,0,3,2] row_mask:0xf bank_mask:0xf// 000000002574: 160822FA FF00B111
	s_nop 1                                                    // 00000000257C: BF800001
	v_max_f32_dpp v4, v4, v4 quad_perm:[2,3,0,1] row_mask:0xf bank_mask:0xf// 000000002580: 160808FA FF004E04
	s_nop 1                                                    // 000000002588: BF800001
	v_max_f32_dpp v4, v4, v4 row_shr:4 row_mask:0xf bank_mask:0xf// 00000000258C: 160808FA FF011404
	s_nop 1                                                    // 000000002594: BF800001
	v_max_f32_dpp v4, v4, v4 row_shr:8 row_mask:0xf bank_mask:0xf// 000000002598: 160808FA FF011804
	s_nop 1                                                    // 0000000025A0: BF800001
	v_max_f32_dpp v4, v4, v4 row_bcast:15 row_mask:0xf bank_mask:0xf// 0000000025A4: 160808FA FF014204
	s_nop 1                                                    // 0000000025AC: BF800001
	v_max_f32_dpp v4, v4, v4 row_bcast:31 row_mask:0xf bank_mask:0xf// 0000000025B0: 160808FA FF014304
	s_nop 0                                                    // 0000000025B8: BF800000
	v_readlane_b32 s20, v4, 63                                 // 0000000025BC: D2890014 00017F04
	v_mov_b32_e32 v17, s20                                     // 0000000025C4: 7E220214
	v_add_f32_e32 v19, v19, v17                                // 0000000025C8: 02262313
	v_cmp_eq_f32_e64 s[24:25], v17, v11                        // 0000000025CC: D0420018 00021711
	v_cmp_eq_f32_e64 s[26:27], v17, v12                        // 0000000025D4: D042001A 00021911
	s_ff1_i32_b64 s28, s[24:25]                                // 0000000025DC: BE9C1118
	s_ff1_i32_b64 s29, s[26:27]                                // 0000000025E0: BE9D111A
	v_readlane_b32 s20, v17, 0                                 // 0000000025E4: D2890014 00010111
	v_writelane_b32 v14, s20, 3                                // 0000000025EC: D28A000E 00010614
	s_mov_b32 s22, s28                                         // 0000000025F4: BE96001C
	s_cmp_eq_u32 s28, -1                                       // 0000000025F8: BF06C11C
	s_cselect_b32 s21, 1, 0                                    // 0000000025FC: 85158081
	s_cbranch_scc0 label_0287                                  // 000000002600: BF840006
	s_add_u32 s35, s21, s35                                    // 000000002604: 80232315
	s_mov_b32 s22, s29                                         // 000000002608: BE96001D
	s_cmp_eq_u32 s29, -1                                       // 00000000260C: BF06C11D
	s_cselect_b32 s21, 1, 0                                    // 000000002610: 85158081
	s_cbranch_scc0 label_0287                                  // 000000002614: BF840001
	s_add_u32 s35, s21, s35                                    // 000000002618: 80232315

000000000000261c <label_0287>:
	s_set_gpr_idx_on s35, gpr_idx(DST)                         // 00000000261C: BF110823
	v_writelane_b32 v11, 0, s22                                // 000000002620: D28A000B 00002C80
	s_set_gpr_idx_off                                          // 000000002628: BF9C0000
	s_mul_i32 s35, 64, s35                                     // 00000000262C: 922323C0
	s_add_u32 s35, s22, s35                                    // 000000002630: 80232316
	v_writelane_b32 v13, s35, 3                                // 000000002634: D28A000D 00010623
	v_max_f32_e32 v17, v11, v12                                // 00000000263C: 1622190B
	s_nop 1                                                    // 000000002640: BF800001
	v_max_f32_dpp v4, v17, v17 quad_perm:[1,0,3,2] row_mask:0xf bank_mask:0xf// 000000002644: 160822FA FF00B111
	s_nop 1                                                    // 00000000264C: BF800001
	v_max_f32_dpp v4, v4, v4 quad_perm:[2,3,0,1] row_mask:0xf bank_mask:0xf// 000000002650: 160808FA FF004E04
	s_nop 1                                                    // 000000002658: BF800001
	v_max_f32_dpp v4, v4, v4 row_shr:4 row_mask:0xf bank_mask:0xf// 00000000265C: 160808FA FF011404
	s_nop 1                                                    // 000000002664: BF800001
	v_max_f32_dpp v4, v4, v4 row_shr:8 row_mask:0xf bank_mask:0xf// 000000002668: 160808FA FF011804
	s_nop 1                                                    // 000000002670: BF800001
	v_max_f32_dpp v4, v4, v4 row_bcast:15 row_mask:0xf bank_mask:0xf// 000000002674: 160808FA FF014204
	s_nop 1                                                    // 00000000267C: BF800001
	v_max_f32_dpp v4, v4, v4 row_bcast:31 row_mask:0xf bank_mask:0xf// 000000002680: 160808FA FF014304
	s_nop 0                                                    // 000000002688: BF800000
	v_readlane_b32 s20, v4, 63                                 // 00000000268C: D2890014 00017F04
	v_mov_b32_e32 v17, s20                                     // 000000002694: 7E220214
	v_add_f32_e32 v19, v19, v17                                // 000000002698: 02262313
	v_cmp_eq_f32_e64 s[24:25], v17, v11                        // 00000000269C: D0420018 00021711
	v_cmp_eq_f32_e64 s[26:27], v17, v12                        // 0000000026A4: D042001A 00021911
	s_ff1_i32_b64 s28, s[24:25]                                // 0000000026AC: BE9C1118
	s_ff1_i32_b64 s29, s[26:27]                                // 0000000026B0: BE9D111A
	v_readlane_b32 s20, v17, 0                                 // 0000000026B4: D2890014 00010111
	v_writelane_b32 v14, s20, 4                                // 0000000026BC: D28A000E 00010814
	s_mov_b32 s22, s28                                         // 0000000026C4: BE96001C
	s_cmp_eq_u32 s28, -1                                       // 0000000026C8: BF06C11C
	s_cselect_b32 s21, 1, 0                                    // 0000000026CC: 85158081
	s_cbranch_scc0 label_02BB                                  // 0000000026D0: BF840006
	s_add_u32 s36, s21, s36                                    // 0000000026D4: 80242415
	s_mov_b32 s22, s29                                         // 0000000026D8: BE96001D
	s_cmp_eq_u32 s29, -1                                       // 0000000026DC: BF06C11D
	s_cselect_b32 s21, 1, 0                                    // 0000000026E0: 85158081
	s_cbranch_scc0 label_02BB                                  // 0000000026E4: BF840001
	s_add_u32 s36, s21, s36                                    // 0000000026E8: 80242415

00000000000026ec <label_02BB>:
	s_set_gpr_idx_on s36, gpr_idx(DST)                         // 0000000026EC: BF110824
	v_writelane_b32 v11, 0, s22                                // 0000000026F0: D28A000B 00002C80
	s_set_gpr_idx_off                                          // 0000000026F8: BF9C0000
	s_mul_i32 s36, 64, s36                                     // 0000000026FC: 922424C0
	s_add_u32 s36, s22, s36                                    // 000000002700: 80242416
	v_writelane_b32 v13, s36, 4                                // 000000002704: D28A000D 00010824
	v_max_f32_e32 v17, v11, v12                                // 00000000270C: 1622190B
	s_nop 1                                                    // 000000002710: BF800001
	v_max_f32_dpp v4, v17, v17 quad_perm:[1,0,3,2] row_mask:0xf bank_mask:0xf// 000000002714: 160822FA FF00B111
	s_nop 1                                                    // 00000000271C: BF800001
	v_max_f32_dpp v4, v4, v4 quad_perm:[2,3,0,1] row_mask:0xf bank_mask:0xf// 000000002720: 160808FA FF004E04
	s_nop 1                                                    // 000000002728: BF800001
	v_max_f32_dpp v4, v4, v4 row_shr:4 row_mask:0xf bank_mask:0xf// 00000000272C: 160808FA FF011404
	s_nop 1                                                    // 000000002734: BF800001
	v_max_f32_dpp v4, v4, v4 row_shr:8 row_mask:0xf bank_mask:0xf// 000000002738: 160808FA FF011804
	s_nop 1                                                    // 000000002740: BF800001
	v_max_f32_dpp v4, v4, v4 row_bcast:15 row_mask:0xf bank_mask:0xf// 000000002744: 160808FA FF014204
	s_nop 1                                                    // 00000000274C: BF800001
	v_max_f32_dpp v4, v4, v4 row_bcast:31 row_mask:0xf bank_mask:0xf// 000000002750: 160808FA FF014304
	s_nop 0                                                    // 000000002758: BF800000
	v_readlane_b32 s20, v4, 63                                 // 00000000275C: D2890014 00017F04
	v_mov_b32_e32 v17, s20                                     // 000000002764: 7E220214
	v_add_f32_e32 v19, v19, v17                                // 000000002768: 02262313
	v_cmp_eq_f32_e64 s[24:25], v17, v11                        // 00000000276C: D0420018 00021711
	v_cmp_eq_f32_e64 s[26:27], v17, v12                        // 000000002774: D042001A 00021911
	s_ff1_i32_b64 s28, s[24:25]                                // 00000000277C: BE9C1118
	s_ff1_i32_b64 s29, s[26:27]                                // 000000002780: BE9D111A
	v_readlane_b32 s20, v17, 0                                 // 000000002784: D2890014 00010111
	v_writelane_b32 v14, s20, 5                                // 00000000278C: D28A000E 00010A14
	s_mov_b32 s22, s28                                         // 000000002794: BE96001C
	s_cmp_eq_u32 s28, -1                                       // 000000002798: BF06C11C
	s_cselect_b32 s21, 1, 0                                    // 00000000279C: 85158081
	s_cbranch_scc0 label_02EF                                  // 0000000027A0: BF840006
	s_add_u32 s37, s21, s37                                    // 0000000027A4: 80252515
	s_mov_b32 s22, s29                                         // 0000000027A8: BE96001D
	s_cmp_eq_u32 s29, -1                                       // 0000000027AC: BF06C11D
	s_cselect_b32 s21, 1, 0                                    // 0000000027B0: 85158081
	s_cbranch_scc0 label_02EF                                  // 0000000027B4: BF840001
	s_add_u32 s37, s21, s37                                    // 0000000027B8: 80252515

00000000000027bc <label_02EF>:
	s_set_gpr_idx_on s37, gpr_idx(DST)                         // 0000000027BC: BF110825
	v_writelane_b32 v11, 0, s22                                // 0000000027C0: D28A000B 00002C80
	s_set_gpr_idx_off                                          // 0000000027C8: BF9C0000
	s_mul_i32 s37, 64, s37                                     // 0000000027CC: 922525C0
	s_add_u32 s37, s22, s37                                    // 0000000027D0: 80252516
	v_writelane_b32 v13, s37, 5                                // 0000000027D4: D28A000D 00010A25
	s_bfm_b64 exec, s18, 0                                     // 0000000027DC: 91FE8012
	buffer_store_dword v13, v9, s[4:7], 0 offen                // 0000000027E0: E0701000 80010D09
	v_rcp_f32_e32 v19, v19                                     // 0000000027E8: 7E264513
	s_nop 0                                                    // 0000000027EC: BF800000
	v_mul_f32_e32 v14, v14, v19                                // 0000000027F0: 0A1C270E
	buffer_store_dword v14, v10, s[8:11], 0 offen              // 0000000027F4: E0701000 80020E0A

00000000000027fc <label_02FF>:
	s_waitcnt vmcnt(0) expcnt(0) lgkmcnt(0)                    // 0000000027FC: BF8C0000
	s_endpgm                                                   // 000000002800: BF810000
